;; amdgpu-corpus repo=ROCm/rocFFT kind=compiled arch=gfx906 opt=O3
	.text
	.amdgcn_target "amdgcn-amd-amdhsa--gfx906"
	.amdhsa_code_object_version 6
	.protected	fft_rtc_back_len1225_factors_5_5_7_7_wgs_175_tpt_175_halfLds_half_op_CI_CI_sbrr_dirReg ; -- Begin function fft_rtc_back_len1225_factors_5_5_7_7_wgs_175_tpt_175_halfLds_half_op_CI_CI_sbrr_dirReg
	.globl	fft_rtc_back_len1225_factors_5_5_7_7_wgs_175_tpt_175_halfLds_half_op_CI_CI_sbrr_dirReg
	.p2align	8
	.type	fft_rtc_back_len1225_factors_5_5_7_7_wgs_175_tpt_175_halfLds_half_op_CI_CI_sbrr_dirReg,@function
fft_rtc_back_len1225_factors_5_5_7_7_wgs_175_tpt_175_halfLds_half_op_CI_CI_sbrr_dirReg: ; @fft_rtc_back_len1225_factors_5_5_7_7_wgs_175_tpt_175_halfLds_half_op_CI_CI_sbrr_dirReg
; %bb.0:
	s_load_dwordx4 s[16:19], s[4:5], 0x18
	s_load_dwordx4 s[12:15], s[4:5], 0x0
	;; [unrolled: 1-line block ×3, first 2 shown]
	v_mul_u32_u24_e32 v1, 0x177, v0
	v_mov_b32_e32 v7, 0
	s_waitcnt lgkmcnt(0)
	s_load_dwordx2 s[20:21], s[16:17], 0x0
	s_load_dwordx2 s[2:3], s[18:19], 0x0
	v_cmp_lt_u64_e64 s[0:1], s[14:15], 2
	v_mov_b32_e32 v5, 0
	v_add_u32_sdwa v9, s6, v1 dst_sel:DWORD dst_unused:UNUSED_PAD src0_sel:DWORD src1_sel:WORD_1
	v_mov_b32_e32 v10, v7
	s_and_b64 vcc, exec, s[0:1]
	v_mov_b32_e32 v6, 0
	s_cbranch_vccnz .LBB0_8
; %bb.1:
	s_load_dwordx2 s[0:1], s[4:5], 0x10
	s_add_u32 s6, s18, 8
	s_addc_u32 s7, s19, 0
	s_add_u32 s22, s16, 8
	s_addc_u32 s23, s17, 0
	v_mov_b32_e32 v5, 0
	s_waitcnt lgkmcnt(0)
	s_add_u32 s24, s0, 8
	v_mov_b32_e32 v6, 0
	v_mov_b32_e32 v1, v5
	s_addc_u32 s25, s1, 0
	s_mov_b64 s[26:27], 1
	v_mov_b32_e32 v2, v6
.LBB0_2:                                ; =>This Inner Loop Header: Depth=1
	s_load_dwordx2 s[28:29], s[24:25], 0x0
                                        ; implicit-def: $vgpr3_vgpr4
	s_waitcnt lgkmcnt(0)
	v_or_b32_e32 v8, s29, v10
	v_cmp_ne_u64_e32 vcc, 0, v[7:8]
	s_and_saveexec_b64 s[0:1], vcc
	s_xor_b64 s[30:31], exec, s[0:1]
	s_cbranch_execz .LBB0_4
; %bb.3:                                ;   in Loop: Header=BB0_2 Depth=1
	v_cvt_f32_u32_e32 v3, s28
	v_cvt_f32_u32_e32 v4, s29
	s_sub_u32 s0, 0, s28
	s_subb_u32 s1, 0, s29
	v_mac_f32_e32 v3, 0x4f800000, v4
	v_rcp_f32_e32 v3, v3
	v_mul_f32_e32 v3, 0x5f7ffffc, v3
	v_mul_f32_e32 v4, 0x2f800000, v3
	v_trunc_f32_e32 v4, v4
	v_mac_f32_e32 v3, 0xcf800000, v4
	v_cvt_u32_f32_e32 v4, v4
	v_cvt_u32_f32_e32 v3, v3
	v_mul_lo_u32 v8, s0, v4
	v_mul_hi_u32 v11, s0, v3
	v_mul_lo_u32 v13, s1, v3
	v_mul_lo_u32 v12, s0, v3
	v_add_u32_e32 v8, v11, v8
	v_add_u32_e32 v8, v8, v13
	v_mul_hi_u32 v11, v3, v12
	v_mul_lo_u32 v13, v3, v8
	v_mul_hi_u32 v15, v3, v8
	v_mul_hi_u32 v14, v4, v12
	v_mul_lo_u32 v12, v4, v12
	v_mul_hi_u32 v16, v4, v8
	v_add_co_u32_e32 v11, vcc, v11, v13
	v_addc_co_u32_e32 v13, vcc, 0, v15, vcc
	v_mul_lo_u32 v8, v4, v8
	v_add_co_u32_e32 v11, vcc, v11, v12
	v_addc_co_u32_e32 v11, vcc, v13, v14, vcc
	v_addc_co_u32_e32 v12, vcc, 0, v16, vcc
	v_add_co_u32_e32 v8, vcc, v11, v8
	v_addc_co_u32_e32 v11, vcc, 0, v12, vcc
	v_add_co_u32_e32 v3, vcc, v3, v8
	v_addc_co_u32_e32 v4, vcc, v4, v11, vcc
	v_mul_lo_u32 v8, s0, v4
	v_mul_hi_u32 v11, s0, v3
	v_mul_lo_u32 v12, s1, v3
	v_mul_lo_u32 v13, s0, v3
	v_add_u32_e32 v8, v11, v8
	v_add_u32_e32 v8, v8, v12
	v_mul_lo_u32 v14, v3, v8
	v_mul_hi_u32 v15, v3, v13
	v_mul_hi_u32 v16, v3, v8
	;; [unrolled: 1-line block ×3, first 2 shown]
	v_mul_lo_u32 v13, v4, v13
	v_mul_hi_u32 v11, v4, v8
	v_add_co_u32_e32 v14, vcc, v15, v14
	v_addc_co_u32_e32 v15, vcc, 0, v16, vcc
	v_mul_lo_u32 v8, v4, v8
	v_add_co_u32_e32 v13, vcc, v14, v13
	v_addc_co_u32_e32 v12, vcc, v15, v12, vcc
	v_addc_co_u32_e32 v11, vcc, 0, v11, vcc
	v_add_co_u32_e32 v8, vcc, v12, v8
	v_addc_co_u32_e32 v11, vcc, 0, v11, vcc
	v_add_co_u32_e32 v8, vcc, v3, v8
	v_addc_co_u32_e32 v11, vcc, v4, v11, vcc
	v_mad_u64_u32 v[3:4], s[0:1], v9, v11, 0
	v_mul_hi_u32 v12, v9, v8
	v_add_co_u32_e32 v13, vcc, v12, v3
	v_addc_co_u32_e32 v14, vcc, 0, v4, vcc
	v_mad_u64_u32 v[3:4], s[0:1], v10, v8, 0
	v_mad_u64_u32 v[11:12], s[0:1], v10, v11, 0
	v_add_co_u32_e32 v3, vcc, v13, v3
	v_addc_co_u32_e32 v3, vcc, v14, v4, vcc
	v_addc_co_u32_e32 v4, vcc, 0, v12, vcc
	v_add_co_u32_e32 v8, vcc, v3, v11
	v_addc_co_u32_e32 v11, vcc, 0, v4, vcc
	v_mul_lo_u32 v12, s29, v8
	v_mul_lo_u32 v13, s28, v11
	v_mad_u64_u32 v[3:4], s[0:1], s28, v8, 0
	v_add3_u32 v4, v4, v13, v12
	v_sub_u32_e32 v12, v10, v4
	v_mov_b32_e32 v13, s29
	v_sub_co_u32_e32 v3, vcc, v9, v3
	v_subb_co_u32_e64 v12, s[0:1], v12, v13, vcc
	v_subrev_co_u32_e64 v13, s[0:1], s28, v3
	v_subbrev_co_u32_e64 v12, s[0:1], 0, v12, s[0:1]
	v_cmp_le_u32_e64 s[0:1], s29, v12
	v_cndmask_b32_e64 v14, 0, -1, s[0:1]
	v_cmp_le_u32_e64 s[0:1], s28, v13
	v_cndmask_b32_e64 v13, 0, -1, s[0:1]
	v_cmp_eq_u32_e64 s[0:1], s29, v12
	v_cndmask_b32_e64 v12, v14, v13, s[0:1]
	v_add_co_u32_e64 v13, s[0:1], 2, v8
	v_addc_co_u32_e64 v14, s[0:1], 0, v11, s[0:1]
	v_add_co_u32_e64 v15, s[0:1], 1, v8
	v_addc_co_u32_e64 v16, s[0:1], 0, v11, s[0:1]
	v_subb_co_u32_e32 v4, vcc, v10, v4, vcc
	v_cmp_ne_u32_e64 s[0:1], 0, v12
	v_cmp_le_u32_e32 vcc, s29, v4
	v_cndmask_b32_e64 v12, v16, v14, s[0:1]
	v_cndmask_b32_e64 v14, 0, -1, vcc
	v_cmp_le_u32_e32 vcc, s28, v3
	v_cndmask_b32_e64 v3, 0, -1, vcc
	v_cmp_eq_u32_e32 vcc, s29, v4
	v_cndmask_b32_e32 v3, v14, v3, vcc
	v_cmp_ne_u32_e32 vcc, 0, v3
	v_cndmask_b32_e64 v3, v15, v13, s[0:1]
	v_cndmask_b32_e32 v4, v11, v12, vcc
	v_cndmask_b32_e32 v3, v8, v3, vcc
.LBB0_4:                                ;   in Loop: Header=BB0_2 Depth=1
	s_andn2_saveexec_b64 s[0:1], s[30:31]
	s_cbranch_execz .LBB0_6
; %bb.5:                                ;   in Loop: Header=BB0_2 Depth=1
	v_cvt_f32_u32_e32 v3, s28
	s_sub_i32 s30, 0, s28
	v_rcp_iflag_f32_e32 v3, v3
	v_mul_f32_e32 v3, 0x4f7ffffe, v3
	v_cvt_u32_f32_e32 v3, v3
	v_mul_lo_u32 v4, s30, v3
	v_mul_hi_u32 v4, v3, v4
	v_add_u32_e32 v3, v3, v4
	v_mul_hi_u32 v3, v9, v3
	v_mul_lo_u32 v4, v3, s28
	v_add_u32_e32 v8, 1, v3
	v_sub_u32_e32 v4, v9, v4
	v_subrev_u32_e32 v11, s28, v4
	v_cmp_le_u32_e32 vcc, s28, v4
	v_cndmask_b32_e32 v4, v4, v11, vcc
	v_cndmask_b32_e32 v3, v3, v8, vcc
	v_add_u32_e32 v8, 1, v3
	v_cmp_le_u32_e32 vcc, s28, v4
	v_cndmask_b32_e32 v3, v3, v8, vcc
	v_mov_b32_e32 v4, v7
.LBB0_6:                                ;   in Loop: Header=BB0_2 Depth=1
	s_or_b64 exec, exec, s[0:1]
	v_mul_lo_u32 v8, v4, s28
	v_mul_lo_u32 v13, v3, s29
	v_mad_u64_u32 v[11:12], s[0:1], v3, s28, 0
	s_load_dwordx2 s[0:1], s[22:23], 0x0
	s_load_dwordx2 s[28:29], s[6:7], 0x0
	v_add3_u32 v8, v12, v13, v8
	v_sub_co_u32_e32 v9, vcc, v9, v11
	v_subb_co_u32_e32 v8, vcc, v10, v8, vcc
	s_waitcnt lgkmcnt(0)
	v_mul_lo_u32 v10, s0, v8
	v_mul_lo_u32 v11, s1, v9
	v_mad_u64_u32 v[5:6], s[0:1], s0, v9, v[5:6]
	v_mul_lo_u32 v8, s28, v8
	v_mul_lo_u32 v12, s29, v9
	v_mad_u64_u32 v[1:2], s[0:1], s28, v9, v[1:2]
	s_add_u32 s26, s26, 1
	s_addc_u32 s27, s27, 0
	s_add_u32 s6, s6, 8
	v_add3_u32 v2, v12, v2, v8
	s_addc_u32 s7, s7, 0
	v_mov_b32_e32 v8, s14
	s_add_u32 s22, s22, 8
	v_mov_b32_e32 v9, s15
	s_addc_u32 s23, s23, 0
	v_cmp_ge_u64_e32 vcc, s[26:27], v[8:9]
	s_add_u32 s24, s24, 8
	v_add3_u32 v6, v11, v6, v10
	s_addc_u32 s25, s25, 0
	s_cbranch_vccnz .LBB0_9
; %bb.7:                                ;   in Loop: Header=BB0_2 Depth=1
	v_mov_b32_e32 v10, v4
	v_mov_b32_e32 v9, v3
	s_branch .LBB0_2
.LBB0_8:
	v_mov_b32_e32 v1, v5
	v_mov_b32_e32 v3, v9
	;; [unrolled: 1-line block ×4, first 2 shown]
.LBB0_9:
	s_load_dwordx2 s[0:1], s[4:5], 0x28
	s_lshl_b64 s[14:15], s[14:15], 3
	s_add_u32 s4, s18, s14
	s_addc_u32 s5, s19, s15
                                        ; implicit-def: $sgpr18
                                        ; implicit-def: $vgpr7
	s_waitcnt lgkmcnt(0)
	v_cmp_gt_u64_e32 vcc, s[0:1], v[3:4]
	v_cmp_le_u64_e64 s[0:1], s[0:1], v[3:4]
	s_and_saveexec_b64 s[6:7], s[0:1]
	s_xor_b64 s[0:1], exec, s[6:7]
; %bb.10:
	s_mov_b32 s6, 0x1767dcf
	v_mul_hi_u32 v5, v0, s6
	s_mov_b32 s18, 0
	v_mul_u32_u24_e32 v5, 0xaf, v5
	v_sub_u32_e32 v7, v0, v5
                                        ; implicit-def: $vgpr0
                                        ; implicit-def: $vgpr5_vgpr6
; %bb.11:
	s_or_saveexec_b64 s[6:7], s[0:1]
	s_load_dwordx2 s[4:5], s[4:5], 0x0
	v_mov_b32_e32 v8, s18
                                        ; implicit-def: $vgpr31
                                        ; implicit-def: $vgpr15
                                        ; implicit-def: $vgpr32
                                        ; implicit-def: $vgpr10
                                        ; implicit-def: $vgpr33
                                        ; implicit-def: $vgpr11
                                        ; implicit-def: $vgpr34
                                        ; implicit-def: $vgpr13
                                        ; implicit-def: $vgpr23
                                        ; implicit-def: $vgpr27
                                        ; implicit-def: $vgpr19
                                        ; implicit-def: $vgpr24
                                        ; implicit-def: $vgpr20
                                        ; implicit-def: $vgpr21
                                        ; implicit-def: $vgpr18
                                        ; implicit-def: $vgpr25
                                        ; implicit-def: $vgpr22
                                        ; implicit-def: $vgpr16
                                        ; implicit-def: $vgpr35
                                        ; implicit-def: $vgpr14
	s_xor_b64 exec, exec, s[6:7]
	s_cbranch_execz .LBB0_15
; %bb.12:
	s_add_u32 s0, s16, s14
	s_mov_b32 s14, 0x1767dcf
	v_mul_hi_u32 v7, v0, s14
	s_addc_u32 s1, s17, s15
	s_load_dwordx2 s[0:1], s[0:1], 0x0
	v_lshlrev_b64 v[5:6], 2, v[5:6]
	v_mul_u32_u24_e32 v7, 0xaf, v7
	v_sub_u32_e32 v7, v0, v7
	v_mad_u64_u32 v[8:9], s[14:15], s20, v7, 0
	s_waitcnt lgkmcnt(0)
	v_mul_lo_u32 v14, s1, v3
	v_mul_lo_u32 v15, s0, v4
	v_mad_u64_u32 v[10:11], s[0:1], s0, v3, 0
	v_mov_b32_e32 v0, v9
	v_mad_u64_u32 v[12:13], s[0:1], s21, v7, v[0:1]
	v_add3_u32 v11, v11, v15, v14
	v_lshlrev_b64 v[10:11], 2, v[10:11]
	v_mov_b32_e32 v9, v12
	v_mov_b32_e32 v0, s9
	v_add_co_u32_e64 v12, s[0:1], s8, v10
	v_add_u32_e32 v14, 0xf5, v7
	v_addc_co_u32_e64 v13, s[0:1], v0, v11, s[0:1]
	v_mad_u64_u32 v[10:11], s[0:1], s20, v14, 0
	v_add_co_u32_e64 v0, s[0:1], v12, v5
	v_addc_co_u32_e64 v5, s[0:1], v13, v6, s[0:1]
	v_mov_b32_e32 v6, v11
	v_mad_u64_u32 v[11:12], s[0:1], s21, v14, v[6:7]
	v_add_u32_e32 v14, 0x1ea, v7
	v_mad_u64_u32 v[12:13], s[0:1], s20, v14, 0
	v_lshlrev_b64 v[8:9], 2, v[8:9]
	v_add_u32_e32 v18, 0x2df, v7
	v_add_co_u32_e64 v8, s[0:1], v0, v8
	v_mov_b32_e32 v6, v13
	v_addc_co_u32_e64 v9, s[0:1], v5, v9, s[0:1]
	v_mad_u64_u32 v[13:14], s[0:1], s21, v14, v[6:7]
	v_mad_u64_u32 v[14:15], s[0:1], s20, v18, 0
	v_lshlrev_b64 v[10:11], 2, v[10:11]
                                        ; implicit-def: $vgpr25
                                        ; implicit-def: $vgpr24
                                        ; implicit-def: $vgpr27
	v_add_co_u32_e64 v16, s[0:1], v0, v10
	v_mov_b32_e32 v6, v15
	v_addc_co_u32_e64 v17, s[0:1], v5, v11, s[0:1]
	v_lshlrev_b64 v[10:11], 2, v[12:13]
	v_mad_u64_u32 v[12:13], s[0:1], s21, v18, v[6:7]
	v_add_u32_e32 v13, 0x3d4, v7
	v_mad_u64_u32 v[18:19], s[0:1], s20, v13, 0
	v_add_co_u32_e64 v20, s[0:1], v0, v10
	v_mov_b32_e32 v6, v19
	v_addc_co_u32_e64 v21, s[0:1], v5, v11, s[0:1]
	v_mov_b32_e32 v15, v12
	v_mad_u64_u32 v[12:13], s[0:1], s21, v13, v[6:7]
	v_lshlrev_b64 v[10:11], 2, v[14:15]
	v_add_co_u32_e64 v22, s[0:1], v0, v10
	v_mov_b32_e32 v19, v12
	v_addc_co_u32_e64 v23, s[0:1], v5, v11, s[0:1]
	v_lshlrev_b64 v[10:11], 2, v[18:19]
	v_add_co_u32_e64 v18, s[0:1], v0, v10
	v_addc_co_u32_e64 v19, s[0:1], v5, v11, s[0:1]
	global_load_dword v15, v[8:9], off
	global_load_dword v10, v[16:17], off
	;; [unrolled: 1-line block ×5, first 2 shown]
	s_movk_i32 s0, 0x46
	v_cmp_gt_u32_e64 s[0:1], s0, v7
                                        ; implicit-def: $vgpr16
                                        ; implicit-def: $vgpr22
                                        ; implicit-def: $vgpr18
                                        ; implicit-def: $vgpr21
                                        ; implicit-def: $vgpr20
                                        ; implicit-def: $vgpr19
                                        ; implicit-def: $vgpr23
	s_and_saveexec_b64 s[8:9], s[0:1]
	s_cbranch_execz .LBB0_14
; %bb.13:
	v_add_u32_e32 v12, 0xaf, v7
	v_mad_u64_u32 v[8:9], s[0:1], s20, v12, 0
	v_add_u32_e32 v20, 0x1a4, v7
	v_mad_u64_u32 v[16:17], s[0:1], s20, v20, 0
	v_mov_b32_e32 v6, v9
	v_mad_u64_u32 v[18:19], s[0:1], s21, v12, v[6:7]
	v_mov_b32_e32 v6, v17
	v_add_u32_e32 v12, 0x299, v7
	v_mov_b32_e32 v9, v18
	v_mad_u64_u32 v[17:18], s[0:1], s21, v20, v[6:7]
	v_mad_u64_u32 v[18:19], s[0:1], s20, v12, 0
	v_lshlrev_b64 v[8:9], 2, v[8:9]
	v_lshlrev_b64 v[16:17], 2, v[16:17]
	v_add_co_u32_e64 v8, s[0:1], v0, v8
	v_mov_b32_e32 v6, v19
	v_addc_co_u32_e64 v9, s[0:1], v5, v9, s[0:1]
	v_mad_u64_u32 v[19:20], s[0:1], s21, v12, v[6:7]
	v_add_u32_e32 v12, 0x38e, v7
	v_mad_u64_u32 v[20:21], s[0:1], s20, v12, 0
	v_add_co_u32_e64 v22, s[0:1], v0, v16
	v_mov_b32_e32 v6, v21
	v_addc_co_u32_e64 v23, s[0:1], v5, v17, s[0:1]
	v_lshlrev_b64 v[16:17], 2, v[18:19]
	v_mad_u64_u32 v[18:19], s[0:1], s21, v12, v[6:7]
	v_add_u32_e32 v12, 0x483, v7
	v_mad_u64_u32 v[24:25], s[0:1], s20, v12, 0
	v_add_co_u32_e64 v28, s[0:1], v0, v16
	v_mov_b32_e32 v6, v25
	v_addc_co_u32_e64 v29, s[0:1], v5, v17, s[0:1]
	v_mov_b32_e32 v21, v18
	v_mad_u64_u32 v[18:19], s[0:1], s21, v12, v[6:7]
	v_lshlrev_b64 v[16:17], 2, v[20:21]
	v_add_co_u32_e64 v19, s[0:1], v0, v16
	v_mov_b32_e32 v25, v18
	v_addc_co_u32_e64 v20, s[0:1], v5, v17, s[0:1]
	v_lshlrev_b64 v[16:17], 2, v[24:25]
	v_add_co_u32_e64 v30, s[0:1], v0, v16
	v_addc_co_u32_e64 v31, s[0:1], v5, v17, s[0:1]
	global_load_dword v16, v[8:9], off
	global_load_dword v25, v[22:23], off
	;; [unrolled: 1-line block ×5, first 2 shown]
	s_waitcnt vmcnt(4)
	v_lshrrev_b32_e32 v22, 16, v16
	s_waitcnt vmcnt(3)
	v_lshrrev_b32_e32 v18, 16, v25
	;; [unrolled: 2-line block ×5, first 2 shown]
.LBB0_14:
	s_or_b64 exec, exec, s[8:9]
	s_waitcnt vmcnt(4)
	v_lshrrev_b32_e32 v31, 16, v15
	s_waitcnt vmcnt(3)
	v_lshrrev_b32_e32 v32, 16, v10
	;; [unrolled: 2-line block ×5, first 2 shown]
	v_mov_b32_e32 v8, v7
.LBB0_15:
	s_or_b64 exec, exec, s[6:7]
	v_add_f16_e32 v0, v14, v11
	v_fma_f16 v0, v0, -0.5, v15
	v_sub_f16_e32 v5, v32, v34
	s_mov_b32 s0, 0xbb9c
	s_movk_i32 s7, 0x3b9c
	v_fma_f16 v6, v5, s0, v0
	v_sub_f16_e32 v9, v33, v35
	s_mov_b32 s1, 0xb8b4
	v_sub_f16_e32 v12, v10, v11
	v_sub_f16_e32 v17, v13, v14
	v_fma_f16 v0, v5, s7, v0
	s_movk_i32 s8, 0x38b4
	v_fma_f16 v6, v9, s1, v6
	v_add_f16_e32 v12, v12, v17
	s_movk_i32 s6, 0x34f2
	v_fma_f16 v0, v9, s8, v0
	v_fma_f16 v6, v12, s6, v6
	;; [unrolled: 1-line block ×3, first 2 shown]
	v_add_f16_e32 v12, v10, v13
	v_fma_f16 v12, v12, -0.5, v15
	v_fma_f16 v17, v9, s7, v12
	v_sub_f16_e32 v26, v11, v10
	v_sub_f16_e32 v28, v14, v13
	v_fma_f16 v9, v9, s0, v12
	v_fma_f16 v17, v5, s1, v17
	v_add_f16_e32 v26, v26, v28
	v_fma_f16 v5, v5, s8, v9
	v_fma_f16 v17, v26, s6, v17
	v_fma_f16 v26, v26, s6, v5
	v_add_f16_e32 v5, v24, v21
	v_fma_f16 v5, v5, -0.5, v16
	v_sub_f16_e32 v28, v18, v23
	v_fma_f16 v9, v28, s0, v5
	v_sub_f16_e32 v12, v25, v21
	v_sub_f16_e32 v29, v27, v24
	;; [unrolled: 1-line block ×3, first 2 shown]
	v_fma_f16 v5, v28, s7, v5
	v_add_f16_e32 v29, v29, v12
	v_fma_f16 v9, v30, s1, v9
	v_fma_f16 v5, v30, s8, v5
	;; [unrolled: 1-line block ×4, first 2 shown]
	v_sub_f16_e32 v5, v21, v25
	v_sub_f16_e32 v29, v24, v27
	v_add_f16_e32 v29, v29, v5
	v_add_f16_e32 v5, v27, v25
	v_fma_f16 v5, v5, -0.5, v16
	v_fma_f16 v36, v30, s7, v5
	v_fma_f16 v5, v30, s0, v5
	v_fma_f16 v30, v28, s1, v36
	v_fma_f16 v28, v28, s8, v5
	v_add_f16_e32 v5, v15, v10
	v_add_f16_e32 v5, v5, v11
	;; [unrolled: 1-line block ×7, first 2 shown]
	s_movk_i32 s0, 0x46
	v_add_f16_e32 v5, v27, v5
	v_fma_f16 v16, v29, s6, v30
	v_fma_f16 v15, v29, s6, v28
	v_mad_u32_u24 v36, v7, 10, 0
	v_pack_b32_f16 v29, v17, v26
	v_pack_b32_f16 v28, v37, v6
	v_cmp_gt_u32_e64 s[0:1], s0, v7
	ds_write_b64 v36, v[28:29]
	ds_write_b16 v36, v0 offset:8
	s_and_saveexec_b64 s[6:7], s[0:1]
	s_cbranch_execz .LBB0_17
; %bb.16:
	s_mov_b32 s8, 0x5040100
	v_perm_b32 v29, v15, v16, s8
	v_perm_b32 v28, v12, v5, s8
	ds_write_b64 v36, v[28:29] offset:1750
	ds_write_b16 v36, v9 offset:1758
.LBB0_17:
	s_or_b64 exec, exec, s[6:7]
	v_lshlrev_b32_e32 v0, 3, v7
	v_sub_u32_e32 v6, v36, v0
	s_waitcnt lgkmcnt(0)
	s_barrier
	ds_read_u16 v17, v6
	ds_read_u16 v30, v6 offset:490
	ds_read_u16 v29, v6 offset:980
	;; [unrolled: 1-line block ×4, first 2 shown]
	v_sub_u32_e32 v0, 0, v0
	v_add_u32_e32 v0, v36, v0
	s_and_saveexec_b64 s[6:7], s[0:1]
	s_cbranch_execz .LBB0_19
; %bb.18:
	ds_read_u16 v5, v0 offset:350
	ds_read_u16 v12, v0 offset:840
	;; [unrolled: 1-line block ×5, first 2 shown]
.LBB0_19:
	s_or_b64 exec, exec, s[6:7]
	v_add_f16_e32 v6, v31, v32
	v_add_f16_e32 v6, v6, v33
	v_add_f16_e32 v6, v6, v35
	v_add_f16_e32 v37, v6, v34
	v_add_f16_e32 v6, v35, v33
	v_fma_f16 v6, v6, -0.5, v31
	v_sub_f16_e32 v10, v10, v13
	s_movk_i32 s6, 0x3b9c
	s_mov_b32 s9, 0xbb9c
	v_fma_f16 v13, v10, s6, v6
	v_sub_f16_e32 v11, v11, v14
	v_sub_f16_e32 v14, v32, v33
	;; [unrolled: 1-line block ×3, first 2 shown]
	v_fma_f16 v6, v10, s9, v6
	s_mov_b32 s14, 0xb8b4
	v_add_f16_e32 v14, v14, v38
	s_movk_i32 s8, 0x34f2
	v_fma_f16 v6, v11, s14, v6
	s_movk_i32 s7, 0x38b4
	v_fma_f16 v38, v14, s8, v6
	v_add_f16_e32 v6, v32, v34
	v_fma_f16 v13, v11, s7, v13
	v_fma_f16 v6, v6, -0.5, v31
	v_fma_f16 v13, v14, s8, v13
	v_fma_f16 v14, v11, s9, v6
	v_sub_f16_e32 v31, v33, v32
	v_sub_f16_e32 v32, v35, v34
	v_fma_f16 v6, v11, s6, v6
	v_add_f16_e32 v11, v19, v20
	v_fma_f16 v14, v10, s7, v14
	v_add_f16_e32 v31, v31, v32
	v_fma_f16 v11, v11, -0.5, v22
	v_sub_f16_e32 v25, v25, v27
	v_fma_f16 v32, v31, s8, v14
	v_fma_f16 v14, v25, s6, v11
	v_sub_f16_e32 v24, v21, v24
	v_sub_f16_e32 v21, v18, v20
	;; [unrolled: 1-line block ×3, first 2 shown]
	v_fma_f16 v11, v25, s9, v11
	v_fma_f16 v6, v10, s14, v6
	;; [unrolled: 1-line block ×3, first 2 shown]
	v_add_f16_e32 v27, v27, v21
	v_fma_f16 v11, v24, s14, v11
	v_fma_f16 v10, v31, s8, v6
	v_add_f16_e32 v6, v18, v22
	v_fma_f16 v21, v27, s8, v14
	v_fma_f16 v14, v27, s8, v11
	v_add_f16_e32 v11, v23, v18
	v_add_f16_e32 v6, v20, v6
	v_fma_f16 v11, v11, -0.5, v22
	v_add_f16_e32 v6, v19, v6
	v_fma_f16 v22, v24, s9, v11
	v_sub_f16_e32 v18, v20, v18
	v_sub_f16_e32 v19, v19, v23
	v_fma_f16 v11, v24, s6, v11
	v_fma_f16 v22, v25, s7, v22
	v_add_f16_e32 v19, v19, v18
	v_fma_f16 v11, v25, s14, v11
	v_add_f16_e32 v6, v23, v6
	v_fma_f16 v18, v19, s8, v22
	v_fma_f16 v19, v19, s8, v11
	v_pack_b32_f16 v11, v32, v10
	v_pack_b32_f16 v10, v37, v13
	s_waitcnt lgkmcnt(0)
	s_barrier
	ds_write_b64 v36, v[10:11]
	ds_write_b16 v36, v38 offset:8
	s_and_saveexec_b64 s[6:7], s[0:1]
	s_cbranch_execz .LBB0_21
; %bb.20:
	s_mov_b32 s8, 0x5040100
	v_perm_b32 v11, v19, v18, s8
	v_perm_b32 v10, v21, v6, s8
	ds_write_b64 v36, v[10:11] offset:1750
	ds_write_b16 v36, v14 offset:1758
.LBB0_21:
	s_or_b64 exec, exec, s[6:7]
	s_waitcnt lgkmcnt(0)
	s_barrier
	ds_read_u16 v11, v0
	ds_read_u16 v23, v0 offset:490
	ds_read_u16 v24, v0 offset:980
	;; [unrolled: 1-line block ×4, first 2 shown]
	s_and_saveexec_b64 s[6:7], s[0:1]
	s_cbranch_execz .LBB0_23
; %bb.22:
	ds_read_u16 v6, v0 offset:350
	ds_read_u16 v21, v0 offset:840
	;; [unrolled: 1-line block ×5, first 2 shown]
.LBB0_23:
	s_or_b64 exec, exec, s[6:7]
	s_movk_i32 s15, 0xcd
	v_mul_lo_u16_sdwa v10, v7, s15 dst_sel:DWORD dst_unused:UNUSED_PAD src0_sel:BYTE_0 src1_sel:DWORD
	v_lshrrev_b16_e32 v13, 10, v10
	v_mul_lo_u16_e32 v10, 5, v13
	v_sub_u16_e32 v25, v7, v10
	v_mov_b32_e32 v10, 4
	v_lshlrev_b32_sdwa v10, v10, v25 dst_sel:DWORD dst_unused:UNUSED_PAD src0_sel:DWORD src1_sel:BYTE_0
	global_load_dwordx4 v[32:35], v10, s[12:13]
	v_add_u32_e32 v10, 0xaf, v7
	s_mov_b32 s6, 0xcccd
	v_mul_u32_u24_sdwa v27, v10, s6 dst_sel:DWORD dst_unused:UNUSED_PAD src0_sel:WORD_0 src1_sel:DWORD
	v_lshrrev_b32_e32 v27, 18, v27
	v_mul_lo_u16_e32 v27, 5, v27
	v_sub_u16_e32 v40, v10, v27
	v_lshlrev_b32_e32 v27, 4, v40
	global_load_dwordx4 v[36:39], v27, s[12:13]
	v_mov_b32_e32 v27, 1
	v_mul_u32_u24_e32 v13, 50, v13
	v_lshlrev_b32_sdwa v25, v27, v25 dst_sel:DWORD dst_unused:UNUSED_PAD src0_sel:DWORD src1_sel:BYTE_0
	v_add3_u32 v13, 0, v13, v25
	s_mov_b32 s16, 0xbb9c
	s_movk_i32 s14, 0x3b9c
	s_mov_b32 s8, 0xb8b4
	s_movk_i32 s17, 0x38b4
	s_movk_i32 s9, 0x34f2
	s_waitcnt vmcnt(0) lgkmcnt(0)
	s_barrier
	v_mul_f16_sdwa v25, v23, v32 dst_sel:DWORD dst_unused:UNUSED_PAD src0_sel:DWORD src1_sel:WORD_1
	v_mul_f16_sdwa v31, v30, v32 dst_sel:DWORD dst_unused:UNUSED_PAD src0_sel:DWORD src1_sel:WORD_1
	;; [unrolled: 1-line block ×8, first 2 shown]
	v_fma_f16 v27, v30, v32, v25
	v_fma_f16 v23, v23, v32, -v31
	v_mul_f16_sdwa v47, v21, v36 dst_sel:DWORD dst_unused:UNUSED_PAD src0_sel:DWORD src1_sel:WORD_1
	v_fma_f16 v30, v29, v33, v41
	v_mul_f16_sdwa v29, v12, v36 dst_sel:DWORD dst_unused:UNUSED_PAD src0_sel:DWORD src1_sel:WORD_1
	v_fma_f16 v32, v28, v34, v43
	v_fma_f16 v28, v22, v34, -v44
	v_fma_f16 v34, v26, v35, v45
	v_fma_f16 v31, v20, v35, -v46
	v_mul_f16_sdwa v35, v14, v39 dst_sel:DWORD dst_unused:UNUSED_PAD src0_sel:DWORD src1_sel:WORD_1
	v_fma_f16 v25, v24, v33, -v42
	v_mul_f16_sdwa v24, v18, v37 dst_sel:DWORD dst_unused:UNUSED_PAD src0_sel:DWORD src1_sel:WORD_1
	v_mul_f16_sdwa v33, v16, v37 dst_sel:DWORD dst_unused:UNUSED_PAD src0_sel:DWORD src1_sel:WORD_1
	;; [unrolled: 1-line block ×4, first 2 shown]
	v_fma_f16 v22, v12, v36, v47
	v_fma_f16 v20, v21, v36, -v29
	v_fma_f16 v29, v9, v39, v35
	v_add_f16_e32 v12, v30, v32
	v_add_f16_e32 v35, v27, v34
	v_mul_f16_sdwa v42, v15, v38 dst_sel:DWORD dst_unused:UNUSED_PAD src0_sel:DWORD src1_sel:WORD_1
	v_fma_f16 v24, v16, v37, v24
	v_fma_f16 v18, v18, v37, -v33
	v_fma_f16 v26, v15, v38, v41
	v_fma_f16 v21, v14, v39, -v43
	v_add_f16_e32 v9, v17, v27
	v_sub_f16_e32 v14, v23, v31
	v_sub_f16_e32 v15, v25, v28
	;; [unrolled: 1-line block ×6, first 2 shown]
	v_fma_f16 v12, v12, -0.5, v17
	v_fma_f16 v17, v35, -0.5, v17
	v_add_f16_e32 v9, v9, v30
	v_add_f16_e32 v16, v16, v33
	;; [unrolled: 1-line block ×3, first 2 shown]
	v_fma_f16 v35, v14, s16, v12
	v_fma_f16 v12, v14, s14, v12
	v_fma_f16 v36, v15, s14, v17
	v_fma_f16 v17, v15, s16, v17
	v_add_f16_e32 v9, v9, v32
	v_fma_f16 v35, v15, s8, v35
	v_fma_f16 v12, v15, s17, v12
	;; [unrolled: 1-line block ×4, first 2 shown]
	v_fma_f16 v19, v19, v38, -v42
	v_add_f16_e32 v9, v9, v34
	v_fma_f16 v15, v33, s9, v15
	v_fma_f16 v14, v33, s9, v14
	v_lshlrev_b32_e32 v33, 1, v40
	v_fma_f16 v17, v16, s9, v35
	v_fma_f16 v12, v16, s9, v12
	ds_write_b16 v13, v9
	ds_write_b16 v13, v17 offset:10
	ds_write_b16 v13, v15 offset:20
	;; [unrolled: 1-line block ×4, first 2 shown]
	s_and_saveexec_b64 s[6:7], s[0:1]
	s_cbranch_execz .LBB0_25
; %bb.24:
	v_add_f16_e32 v14, v22, v29
	v_sub_f16_e32 v9, v24, v22
	v_sub_f16_e32 v12, v26, v29
	v_fma_f16 v14, v14, -0.5, v5
	v_sub_f16_e32 v15, v18, v19
	v_add_f16_e32 v9, v9, v12
	v_sub_f16_e32 v12, v20, v21
	v_fma_f16 v16, v15, s16, v14
	v_fma_f16 v14, v15, s14, v14
	;; [unrolled: 1-line block ×6, first 2 shown]
	v_sub_f16_e32 v14, v22, v24
	v_sub_f16_e32 v17, v29, v26
	v_add_f16_e32 v14, v14, v17
	v_add_f16_e32 v17, v24, v26
	v_fma_f16 v17, v17, -0.5, v5
	v_fma_f16 v35, v12, s14, v17
	v_fma_f16 v12, v12, s16, v17
	;; [unrolled: 1-line block ×6, first 2 shown]
	v_add_f16_e32 v5, v5, v22
	v_mul_lo_u16_sdwa v14, v10, s15 dst_sel:DWORD dst_unused:UNUSED_PAD src0_sel:BYTE_0 src1_sel:DWORD
	v_add_f16_e32 v5, v5, v24
	v_lshrrev_b16_e32 v14, 10, v14
	v_add_f16_e32 v5, v5, v26
	v_mul_u32_u24_e32 v14, 50, v14
	v_add_f16_e32 v5, v5, v29
	v_add3_u32 v14, 0, v14, v33
	ds_write_b16 v14, v5
	ds_write_b16 v14, v12 offset:10
	ds_write_b16 v14, v9 offset:20
	;; [unrolled: 1-line block ×4, first 2 shown]
.LBB0_25:
	s_or_b64 exec, exec, s[6:7]
	v_add_f16_e32 v5, v11, v23
	v_add_f16_e32 v5, v5, v25
	;; [unrolled: 1-line block ×5, first 2 shown]
	v_fma_f16 v5, v5, -0.5, v11
	v_sub_f16_e32 v9, v27, v34
	v_fma_f16 v12, v9, s14, v5
	v_sub_f16_e32 v14, v30, v32
	v_sub_f16_e32 v15, v23, v25
	v_sub_f16_e32 v16, v31, v28
	v_fma_f16 v5, v9, s16, v5
	v_add_f16_e32 v15, v15, v16
	v_fma_f16 v5, v14, s8, v5
	v_fma_f16 v30, v15, s9, v5
	v_add_f16_e32 v5, v23, v31
	v_fma_f16 v12, v14, s17, v12
	v_fma_f16 v5, v5, -0.5, v11
	v_fma_f16 v27, v15, s9, v12
	v_fma_f16 v11, v14, s16, v5
	v_sub_f16_e32 v12, v25, v23
	v_sub_f16_e32 v15, v28, v31
	v_fma_f16 v5, v14, s14, v5
	v_fma_f16 v11, v9, s17, v11
	v_add_f16_e32 v12, v12, v15
	v_fma_f16 v5, v9, s8, v5
	v_fma_f16 v23, v12, s9, v11
	;; [unrolled: 1-line block ×3, first 2 shown]
	s_waitcnt lgkmcnt(0)
	s_barrier
	v_lshl_add_u32 v5, v7, 1, 0
	ds_read_u16 v16, v0 offset:700
	ds_read_u16 v15, v0 offset:1050
	;; [unrolled: 1-line block ×5, first 2 shown]
	ds_read_u16 v9, v0
	ds_read_u16 v17, v5 offset:350
	s_waitcnt lgkmcnt(0)
	s_barrier
	ds_write_b16 v13, v35
	ds_write_b16 v13, v27 offset:10
	ds_write_b16 v13, v23 offset:20
	;; [unrolled: 1-line block ×4, first 2 shown]
	s_and_saveexec_b64 s[6:7], s[0:1]
	s_cbranch_execz .LBB0_27
; %bb.26:
	v_add_f16_e32 v23, v18, v19
	v_fma_f16 v23, v23, -0.5, v6
	v_sub_f16_e32 v22, v22, v29
	s_movk_i32 s0, 0x3b9c
	s_mov_b32 s9, 0xbb9c
	v_fma_f16 v25, v22, s0, v23
	v_sub_f16_e32 v24, v24, v26
	s_movk_i32 s1, 0x38b4
	v_sub_f16_e32 v26, v20, v18
	v_sub_f16_e32 v27, v21, v19
	v_fma_f16 v23, v22, s9, v23
	s_mov_b32 s14, 0xb8b4
	v_fma_f16 v25, v24, s1, v25
	v_add_f16_e32 v26, v26, v27
	s_movk_i32 s8, 0x34f2
	v_fma_f16 v23, v24, s14, v23
	v_fma_f16 v25, v26, s8, v25
	;; [unrolled: 1-line block ×3, first 2 shown]
	v_add_f16_e32 v26, v20, v21
	v_add_f16_e32 v13, v6, v20
	v_fma_f16 v6, v26, -0.5, v6
	v_fma_f16 v26, v24, s9, v6
	v_fma_f16 v6, v24, s0, v6
	s_movk_i32 s0, 0xcd
	v_mul_lo_u16_sdwa v10, v10, s0 dst_sel:DWORD dst_unused:UNUSED_PAD src0_sel:BYTE_0 src1_sel:DWORD
	v_add_f16_e32 v13, v13, v18
	v_lshrrev_b16_e32 v10, 10, v10
	v_add_f16_e32 v13, v13, v19
	v_sub_f16_e32 v18, v18, v20
	v_sub_f16_e32 v19, v19, v21
	v_mul_u32_u24_e32 v10, 50, v10
	v_add_f16_e32 v13, v13, v21
	v_fma_f16 v26, v22, s1, v26
	v_add_f16_e32 v18, v18, v19
	v_fma_f16 v6, v22, s14, v6
	v_add3_u32 v10, 0, v10, v33
	v_fma_f16 v19, v18, s8, v26
	v_fma_f16 v6, v18, s8, v6
	ds_write_b16 v10, v13
	ds_write_b16 v10, v25 offset:10
	ds_write_b16 v10, v19 offset:20
	;; [unrolled: 1-line block ×4, first 2 shown]
.LBB0_27:
	s_or_b64 exec, exec, s[6:7]
	v_mov_b32_e32 v6, 41
	v_mul_lo_u16_sdwa v6, v7, v6 dst_sel:DWORD dst_unused:UNUSED_PAD src0_sel:BYTE_0 src1_sel:DWORD
	v_lshrrev_b16_e32 v6, 10, v6
	v_mul_lo_u16_e32 v10, 25, v6
	v_sub_u16_e32 v10, v7, v10
	v_mov_b32_e32 v13, 6
	v_mul_u32_u24_sdwa v13, v10, v13 dst_sel:DWORD dst_unused:UNUSED_PAD src0_sel:BYTE_0 src1_sel:DWORD
	v_lshlrev_b32_e32 v13, 2, v13
	s_waitcnt lgkmcnt(0)
	s_barrier
	global_load_dwordx4 v[18:21], v13, s[12:13] offset:80
	global_load_dwordx2 v[22:23], v13, s[12:13] offset:96
	ds_read_u16 v13, v5 offset:350
	ds_read_u16 v24, v0
	ds_read_u16 v25, v0 offset:700
	ds_read_u16 v26, v0 offset:1050
	;; [unrolled: 1-line block ×5, first 2 shown]
	s_movk_i32 s7, 0x2b26
	s_mov_b32 s0, 0xbb00
	s_mov_b32 s6, 0xbcab
	;; [unrolled: 1-line block ×4, first 2 shown]
	s_movk_i32 s9, 0x3574
	s_mov_b32 s14, 0xb70e
	v_mul_u32_u24_e32 v6, 0x15e, v6
	s_waitcnt vmcnt(0) lgkmcnt(0)
	s_barrier
	s_movk_i32 s1, 0x3a52
	v_mul_f16_sdwa v30, v13, v18 dst_sel:DWORD dst_unused:UNUSED_PAD src0_sel:DWORD src1_sel:WORD_1
	v_mul_f16_sdwa v31, v17, v18 dst_sel:DWORD dst_unused:UNUSED_PAD src0_sel:DWORD src1_sel:WORD_1
	;; [unrolled: 1-line block ×12, first 2 shown]
	v_fma_f16 v17, v17, v18, v30
	v_fma_f16 v13, v13, v18, -v31
	v_fma_f16 v16, v16, v19, v32
	v_fma_f16 v18, v25, v19, -v33
	;; [unrolled: 2-line block ×6, first 2 shown]
	v_add_f16_e32 v23, v17, v11
	v_add_f16_e32 v25, v13, v22
	v_sub_f16_e32 v11, v17, v11
	v_sub_f16_e32 v13, v13, v22
	v_add_f16_e32 v17, v16, v12
	v_add_f16_e32 v22, v18, v21
	v_sub_f16_e32 v12, v16, v12
	v_sub_f16_e32 v16, v18, v21
	;; [unrolled: 4-line block ×4, first 2 shown]
	v_sub_f16_e32 v23, v23, v18
	v_sub_f16_e32 v25, v25, v21
	;; [unrolled: 1-line block ×4, first 2 shown]
	v_add_f16_e32 v28, v14, v12
	v_add_f16_e32 v29, v15, v16
	v_sub_f16_e32 v30, v14, v12
	v_sub_f16_e32 v31, v15, v16
	;; [unrolled: 1-line block ×3, first 2 shown]
	v_add_f16_e32 v18, v18, v19
	v_add_f16_e32 v19, v21, v20
	v_mul_f16_e32 v20, 0x3a52, v23
	v_mul_f16_e32 v21, 0x3a52, v25
	v_sub_f16_e32 v14, v11, v14
	v_sub_f16_e32 v15, v13, v15
	;; [unrolled: 1-line block ×3, first 2 shown]
	v_add_f16_e32 v11, v28, v11
	v_add_f16_e32 v13, v29, v13
	v_mul_f16_e32 v23, 0x2b26, v17
	v_mul_f16_e32 v25, 0x2b26, v22
	;; [unrolled: 1-line block ×5, first 2 shown]
	v_add_f16_e32 v9, v9, v18
	v_add_f16_e32 v24, v24, v19
	v_fma_f16 v17, v17, s7, v20
	v_fma_f16 v22, v22, s7, v21
	s_movk_i32 s7, 0x39e0
	v_mul_f16_e32 v30, 0xbb00, v12
	v_fma_f16 v18, v18, s6, v9
	v_fma_f16 v19, v19, s6, v24
	v_fma_f16 v23, v26, s7, -v23
	v_fma_f16 v25, v27, s7, -v25
	;; [unrolled: 1-line block ×4, first 2 shown]
	v_fma_f16 v27, v15, s15, v29
	v_fma_f16 v12, v12, s0, -v28
	v_fma_f16 v16, v16, s0, -v29
	;; [unrolled: 1-line block ×3, first 2 shown]
	v_fma_f16 v26, v14, s15, v28
	v_add_f16_e32 v17, v17, v18
	v_add_f16_e32 v22, v22, v19
	;; [unrolled: 1-line block ×6, first 2 shown]
	v_fma_f16 v21, v13, s14, v27
	v_fma_f16 v12, v11, s14, v12
	;; [unrolled: 1-line block ×4, first 2 shown]
	v_fma_f16 v14, v14, s9, -v30
	v_fma_f16 v20, v11, s14, v26
	v_add_f16_e32 v26, v13, v18
	v_sub_f16_e32 v28, v23, v16
	v_add_f16_e32 v29, v12, v25
	v_add_f16_e32 v16, v16, v23
	v_sub_f16_e32 v23, v25, v12
	v_sub_f16_e32 v12, v18, v13
	v_mov_b32_e32 v13, 1
	v_fma_f16 v11, v11, s14, v14
	v_lshlrev_b32_sdwa v10, v13, v10 dst_sel:DWORD dst_unused:UNUSED_PAD src0_sel:DWORD src1_sel:BYTE_0
	v_add_f16_e32 v14, v21, v17
	v_sub_f16_e32 v27, v19, v11
	v_add_f16_e32 v18, v11, v19
	v_sub_f16_e32 v11, v17, v21
	v_add3_u32 v19, 0, v6, v10
	ds_write_b16 v19, v9
	ds_write_b16 v19, v14 offset:50
	ds_write_b16 v19, v26 offset:100
	;; [unrolled: 1-line block ×6, first 2 shown]
	s_waitcnt lgkmcnt(0)
	s_barrier
	ds_read_u16 v9, v0 offset:1050
	ds_read_u16 v10, v0 offset:1400
	;; [unrolled: 1-line block ×5, first 2 shown]
	ds_read_u16 v6, v0
	ds_read_u16 v14, v5 offset:350
	v_sub_f16_e32 v15, v22, v20
	v_add_f16_e32 v17, v20, v22
	s_waitcnt lgkmcnt(0)
	s_barrier
	ds_write_b16 v19, v24
	ds_write_b16 v19, v15 offset:50
	ds_write_b16 v19, v27 offset:100
	;; [unrolled: 1-line block ×6, first 2 shown]
	s_waitcnt lgkmcnt(0)
	s_barrier
	s_and_saveexec_b64 s[16:17], vcc
	s_cbranch_execz .LBB0_29
; %bb.28:
	v_mul_u32_u24_e32 v7, 6, v7
	v_lshlrev_b32_e32 v7, 2, v7
	global_load_dwordx4 v[15:18], v7, s[12:13] offset:680
	global_load_dwordx2 v[19:20], v7, s[12:13] offset:696
	v_mul_lo_u32 v7, s5, v3
	v_mul_lo_u32 v21, s4, v4
	v_mad_u64_u32 v[3:4], s[4:5], s4, v3, 0
	ds_read_u16 v5, v5 offset:350
	ds_read_u16 v22, v0 offset:2100
	;; [unrolled: 1-line block ×6, first 2 shown]
	ds_read_u16 v0, v0
	v_add3_u32 v4, v4, v21, v7
	v_lshlrev_b64 v[3:4], 2, v[3:4]
	v_add_co_u32_e32 v3, vcc, s10, v3
	s_waitcnt vmcnt(1)
	v_lshrrev_b32_e32 v7, 16, v15
	v_lshrrev_b32_e32 v21, 16, v16
	;; [unrolled: 1-line block ×4, first 2 shown]
	v_mul_f16_e32 v29, v14, v15
	s_waitcnt vmcnt(0)
	v_lshrrev_b32_e32 v30, 16, v19
	v_lshrrev_b32_e32 v31, 16, v20
	v_mul_f16_e32 v32, v13, v20
	v_mul_f16_e32 v33, v10, v18
	;; [unrolled: 1-line block ×5, first 2 shown]
	s_waitcnt lgkmcnt(6)
	v_fma_f16 v29, v5, v7, v29
	s_waitcnt lgkmcnt(5)
	v_fma_f16 v32, v22, v31, v32
	;; [unrolled: 2-line block ×5, first 2 shown]
	v_fma_f16 v36, v23, v30, v36
	v_mul_f16_e32 v13, v13, v31
	v_mul_f16_e32 v7, v14, v7
	v_mul_f16_e32 v9, v9, v27
	v_mul_f16_e32 v10, v10, v28
	v_mul_f16_e32 v11, v11, v30
	v_mul_f16_e32 v12, v12, v21
	v_sub_f16_e32 v14, v29, v32
	v_sub_f16_e32 v21, v33, v34
	;; [unrolled: 1-line block ×3, first 2 shown]
	v_fma_f16 v13, v22, v20, -v13
	v_fma_f16 v5, v5, v15, -v7
	;; [unrolled: 1-line block ×6, first 2 shown]
	v_add_f16_e32 v12, v29, v32
	v_add_f16_e32 v16, v35, v36
	;; [unrolled: 1-line block ×3, first 2 shown]
	v_sub_f16_e32 v17, v14, v21
	v_sub_f16_e32 v18, v21, v27
	v_add_f16_e32 v19, v21, v27
	v_add_f16_e32 v20, v5, v13
	;; [unrolled: 1-line block ×4, first 2 shown]
	v_sub_f16_e32 v5, v5, v13
	v_sub_f16_e32 v7, v9, v7
	;; [unrolled: 1-line block ×3, first 2 shown]
	v_add_f16_e32 v22, v11, v10
	v_sub_f16_e32 v23, v12, v15
	v_sub_f16_e32 v24, v15, v16
	v_add_f16_e32 v15, v15, v25
	v_sub_f16_e32 v25, v5, v7
	v_sub_f16_e32 v28, v7, v9
	v_add_f16_e32 v7, v7, v9
	v_mul_f16_e32 v10, 0x3846, v18
	v_add_f16_e32 v11, v14, v19
	v_add_f16_e32 v19, v20, v22
	v_mul_f16_e32 v24, 0x2b26, v24
	v_add_f16_e32 v7, v5, v7
	v_sub_f16_e32 v5, v9, v5
	v_sub_f16_e32 v13, v20, v21
	;; [unrolled: 1-line block ×3, first 2 shown]
	v_mul_f16_e32 v26, 0x3a52, v23
	v_fma_f16 v29, v17, s15, v10
	v_add_f16_e32 v19, v21, v19
	v_fma_f16 v21, v23, s1, v24
	v_add_f16_e32 v23, v6, v15
	v_mul_f16_e32 v6, 0x3846, v28
	v_mul_f16_e32 v9, 0xbb00, v5
	v_fma_f16 v28, v11, s14, v29
	s_waitcnt lgkmcnt(0)
	v_add_f16_e32 v29, v0, v19
	v_fma_f16 v0, v15, s6, v23
	v_fma_f16 v15, v25, s15, v6
	v_sub_f16_e32 v12, v16, v12
	v_fma_f16 v9, v25, s9, -v9
	v_fma_f16 v5, v5, s0, -v6
	v_mul_f16_e32 v18, 0x2b26, v18
	v_fma_f16 v15, v7, s14, v15
	v_sub_f16_e32 v14, v27, v14
	v_fma_f16 v16, v12, s8, -v26
	v_fma_f16 v9, v7, s14, v9
	v_fma_f16 v7, v7, s14, v5
	v_fma_f16 v5, v12, s7, -v24
	v_mul_f16_e32 v30, 0x3a52, v13
	v_fma_f16 v13, v13, s1, v18
	v_add_f16_e32 v21, v21, v0
	v_add_f16_e32 v16, v16, v0
	v_fma_f16 v10, v14, s0, -v10
	v_add_f16_e32 v0, v5, v0
	v_mad_u64_u32 v[5:6], s[0:1], s2, v8, 0
	v_mul_f16_e32 v27, 0xbb00, v14
	v_add_f16_e32 v12, v7, v0
	v_sub_f16_e32 v14, v0, v7
	v_mov_b32_e32 v0, v6
	v_mad_u64_u32 v[6:7], s[0:1], s3, v8, v[0:1]
	v_mov_b32_e32 v0, s11
	v_fma_f16 v19, v19, s6, v29
	v_addc_co_u32_e32 v4, vcc, v0, v4, vcc
	v_lshlrev_b64 v[0:1], 2, v[1:2]
	v_add_f16_e32 v13, v13, v19
	v_add_f16_e32 v31, v28, v13
	v_sub_f16_e32 v32, v21, v15
	v_sub_f16_e32 v25, v16, v9
	v_add_f16_e32 v7, v9, v16
	v_sub_f16_e32 v9, v13, v28
	v_add_f16_e32 v13, v15, v21
	v_add_co_u32_e32 v15, vcc, v3, v0
	v_addc_co_u32_e32 v16, vcc, v4, v1, vcc
	v_add_u32_e32 v4, 0xaf, v8
	v_mad_u64_u32 v[2:3], s[0:1], s2, v4, 0
	v_sub_f16_e32 v20, v22, v20
	v_fma_f16 v18, v20, s7, -v18
	v_fma_f16 v17, v17, s9, -v27
	v_add_f16_e32 v18, v18, v19
	v_fma_f16 v10, v11, s14, v10
	v_fma_f16 v17, v11, s14, v17
	v_sub_f16_e32 v11, v18, v10
	v_add_f16_e32 v10, v10, v18
	v_mad_u64_u32 v[3:4], s[0:1], s3, v4, v[3:4]
	v_add_u32_e32 v18, 0x15e, v8
	v_lshlrev_b64 v[0:1], 2, v[5:6]
	v_mad_u64_u32 v[4:5], s[0:1], s2, v18, 0
	v_add_co_u32_e32 v0, vcc, v15, v0
	v_addc_co_u32_e32 v1, vcc, v16, v1, vcc
	v_pack_b32_f16 v6, v23, v29
	global_store_dword v[0:1], v6, off
	v_lshlrev_b64 v[0:1], 2, v[2:3]
	v_mov_b32_e32 v2, v5
	v_mad_u64_u32 v[2:3], s[0:1], s3, v18, v[2:3]
	v_add_co_u32_e32 v0, vcc, v15, v0
	v_addc_co_u32_e32 v1, vcc, v16, v1, vcc
	v_pack_b32_f16 v3, v13, v9
	v_mov_b32_e32 v5, v2
	global_store_dword v[0:1], v3, off
	v_lshlrev_b64 v[0:1], 2, v[4:5]
	v_add_u32_e32 v4, 0x20d, v8
	v_mad_u64_u32 v[2:3], s[0:1], s2, v4, 0
	v_fma_f16 v22, v20, s8, -v30
	v_add_f16_e32 v22, v22, v19
	v_add_f16_e32 v27, v17, v22
	v_sub_f16_e32 v17, v22, v17
	v_pack_b32_f16 v6, v7, v17
	v_mad_u64_u32 v[3:4], s[0:1], s3, v4, v[3:4]
	v_add_u32_e32 v7, 0x2bc, v8
	v_mad_u64_u32 v[4:5], s[0:1], s2, v7, 0
	v_add_co_u32_e32 v0, vcc, v15, v0
	v_addc_co_u32_e32 v1, vcc, v16, v1, vcc
	global_store_dword v[0:1], v6, off
	v_lshlrev_b64 v[0:1], 2, v[2:3]
	v_mov_b32_e32 v2, v5
	v_mad_u64_u32 v[2:3], s[0:1], s3, v7, v[2:3]
	v_add_co_u32_e32 v0, vcc, v15, v0
	v_addc_co_u32_e32 v1, vcc, v16, v1, vcc
	v_pack_b32_f16 v3, v14, v10
	v_mov_b32_e32 v5, v2
	global_store_dword v[0:1], v3, off
	v_lshlrev_b64 v[0:1], 2, v[4:5]
	v_add_u32_e32 v4, 0x36b, v8
	v_mad_u64_u32 v[2:3], s[0:1], s2, v4, 0
	v_add_u32_e32 v7, 0x41a, v8
	v_add_co_u32_e32 v0, vcc, v15, v0
	v_mad_u64_u32 v[3:4], s[0:1], s3, v4, v[3:4]
	v_mad_u64_u32 v[4:5], s[0:1], s2, v7, 0
	v_addc_co_u32_e32 v1, vcc, v16, v1, vcc
	v_pack_b32_f16 v6, v12, v11
	global_store_dword v[0:1], v6, off
	v_lshlrev_b64 v[0:1], 2, v[2:3]
	v_mov_b32_e32 v2, v5
	v_mad_u64_u32 v[2:3], s[0:1], s3, v7, v[2:3]
	v_add_co_u32_e32 v0, vcc, v15, v0
	v_addc_co_u32_e32 v1, vcc, v16, v1, vcc
	v_pack_b32_f16 v3, v25, v27
	v_mov_b32_e32 v5, v2
	global_store_dword v[0:1], v3, off
	v_lshlrev_b64 v[0:1], 2, v[4:5]
	v_pack_b32_f16 v2, v32, v31
	v_add_co_u32_e32 v0, vcc, v15, v0
	v_addc_co_u32_e32 v1, vcc, v16, v1, vcc
	global_store_dword v[0:1], v2, off
.LBB0_29:
	s_endpgm
	.section	.rodata,"a",@progbits
	.p2align	6, 0x0
	.amdhsa_kernel fft_rtc_back_len1225_factors_5_5_7_7_wgs_175_tpt_175_halfLds_half_op_CI_CI_sbrr_dirReg
		.amdhsa_group_segment_fixed_size 0
		.amdhsa_private_segment_fixed_size 0
		.amdhsa_kernarg_size 104
		.amdhsa_user_sgpr_count 6
		.amdhsa_user_sgpr_private_segment_buffer 1
		.amdhsa_user_sgpr_dispatch_ptr 0
		.amdhsa_user_sgpr_queue_ptr 0
		.amdhsa_user_sgpr_kernarg_segment_ptr 1
		.amdhsa_user_sgpr_dispatch_id 0
		.amdhsa_user_sgpr_flat_scratch_init 0
		.amdhsa_user_sgpr_private_segment_size 0
		.amdhsa_uses_dynamic_stack 0
		.amdhsa_system_sgpr_private_segment_wavefront_offset 0
		.amdhsa_system_sgpr_workgroup_id_x 1
		.amdhsa_system_sgpr_workgroup_id_y 0
		.amdhsa_system_sgpr_workgroup_id_z 0
		.amdhsa_system_sgpr_workgroup_info 0
		.amdhsa_system_vgpr_workitem_id 0
		.amdhsa_next_free_vgpr 48
		.amdhsa_next_free_sgpr 32
		.amdhsa_reserve_vcc 1
		.amdhsa_reserve_flat_scratch 0
		.amdhsa_float_round_mode_32 0
		.amdhsa_float_round_mode_16_64 0
		.amdhsa_float_denorm_mode_32 3
		.amdhsa_float_denorm_mode_16_64 3
		.amdhsa_dx10_clamp 1
		.amdhsa_ieee_mode 1
		.amdhsa_fp16_overflow 0
		.amdhsa_exception_fp_ieee_invalid_op 0
		.amdhsa_exception_fp_denorm_src 0
		.amdhsa_exception_fp_ieee_div_zero 0
		.amdhsa_exception_fp_ieee_overflow 0
		.amdhsa_exception_fp_ieee_underflow 0
		.amdhsa_exception_fp_ieee_inexact 0
		.amdhsa_exception_int_div_zero 0
	.end_amdhsa_kernel
	.text
.Lfunc_end0:
	.size	fft_rtc_back_len1225_factors_5_5_7_7_wgs_175_tpt_175_halfLds_half_op_CI_CI_sbrr_dirReg, .Lfunc_end0-fft_rtc_back_len1225_factors_5_5_7_7_wgs_175_tpt_175_halfLds_half_op_CI_CI_sbrr_dirReg
                                        ; -- End function
	.section	.AMDGPU.csdata,"",@progbits
; Kernel info:
; codeLenInByte = 6860
; NumSgprs: 36
; NumVgprs: 48
; ScratchSize: 0
; MemoryBound: 0
; FloatMode: 240
; IeeeMode: 1
; LDSByteSize: 0 bytes/workgroup (compile time only)
; SGPRBlocks: 4
; VGPRBlocks: 11
; NumSGPRsForWavesPerEU: 36
; NumVGPRsForWavesPerEU: 48
; Occupancy: 5
; WaveLimiterHint : 1
; COMPUTE_PGM_RSRC2:SCRATCH_EN: 0
; COMPUTE_PGM_RSRC2:USER_SGPR: 6
; COMPUTE_PGM_RSRC2:TRAP_HANDLER: 0
; COMPUTE_PGM_RSRC2:TGID_X_EN: 1
; COMPUTE_PGM_RSRC2:TGID_Y_EN: 0
; COMPUTE_PGM_RSRC2:TGID_Z_EN: 0
; COMPUTE_PGM_RSRC2:TIDIG_COMP_CNT: 0
	.type	__hip_cuid_4e7066f43f15abb,@object ; @__hip_cuid_4e7066f43f15abb
	.section	.bss,"aw",@nobits
	.globl	__hip_cuid_4e7066f43f15abb
__hip_cuid_4e7066f43f15abb:
	.byte	0                               ; 0x0
	.size	__hip_cuid_4e7066f43f15abb, 1

	.ident	"AMD clang version 19.0.0git (https://github.com/RadeonOpenCompute/llvm-project roc-6.4.0 25133 c7fe45cf4b819c5991fe208aaa96edf142730f1d)"
	.section	".note.GNU-stack","",@progbits
	.addrsig
	.addrsig_sym __hip_cuid_4e7066f43f15abb
	.amdgpu_metadata
---
amdhsa.kernels:
  - .args:
      - .actual_access:  read_only
        .address_space:  global
        .offset:         0
        .size:           8
        .value_kind:     global_buffer
      - .offset:         8
        .size:           8
        .value_kind:     by_value
      - .actual_access:  read_only
        .address_space:  global
        .offset:         16
        .size:           8
        .value_kind:     global_buffer
      - .actual_access:  read_only
        .address_space:  global
        .offset:         24
        .size:           8
        .value_kind:     global_buffer
      - .actual_access:  read_only
        .address_space:  global
        .offset:         32
        .size:           8
        .value_kind:     global_buffer
      - .offset:         40
        .size:           8
        .value_kind:     by_value
      - .actual_access:  read_only
        .address_space:  global
        .offset:         48
        .size:           8
        .value_kind:     global_buffer
      - .actual_access:  read_only
        .address_space:  global
        .offset:         56
        .size:           8
        .value_kind:     global_buffer
      - .offset:         64
        .size:           4
        .value_kind:     by_value
      - .actual_access:  read_only
        .address_space:  global
        .offset:         72
        .size:           8
        .value_kind:     global_buffer
      - .actual_access:  read_only
        .address_space:  global
        .offset:         80
        .size:           8
        .value_kind:     global_buffer
      - .actual_access:  read_only
        .address_space:  global
        .offset:         88
        .size:           8
        .value_kind:     global_buffer
      - .actual_access:  write_only
        .address_space:  global
        .offset:         96
        .size:           8
        .value_kind:     global_buffer
    .group_segment_fixed_size: 0
    .kernarg_segment_align: 8
    .kernarg_segment_size: 104
    .language:       OpenCL C
    .language_version:
      - 2
      - 0
    .max_flat_workgroup_size: 175
    .name:           fft_rtc_back_len1225_factors_5_5_7_7_wgs_175_tpt_175_halfLds_half_op_CI_CI_sbrr_dirReg
    .private_segment_fixed_size: 0
    .sgpr_count:     36
    .sgpr_spill_count: 0
    .symbol:         fft_rtc_back_len1225_factors_5_5_7_7_wgs_175_tpt_175_halfLds_half_op_CI_CI_sbrr_dirReg.kd
    .uniform_work_group_size: 1
    .uses_dynamic_stack: false
    .vgpr_count:     48
    .vgpr_spill_count: 0
    .wavefront_size: 64
amdhsa.target:   amdgcn-amd-amdhsa--gfx906
amdhsa.version:
  - 1
  - 2
...

	.end_amdgpu_metadata
